;; amdgpu-corpus repo=ROCm/rocFFT kind=compiled arch=gfx1030 opt=O3
	.text
	.amdgcn_target "amdgcn-amd-amdhsa--gfx1030"
	.amdhsa_code_object_version 6
	.protected	fft_rtc_back_len780_factors_2_3_13_5_2_wgs_234_tpt_78_halfLds_sp_op_CI_CI_unitstride_sbrr_R2C_dirReg ; -- Begin function fft_rtc_back_len780_factors_2_3_13_5_2_wgs_234_tpt_78_halfLds_sp_op_CI_CI_unitstride_sbrr_R2C_dirReg
	.globl	fft_rtc_back_len780_factors_2_3_13_5_2_wgs_234_tpt_78_halfLds_sp_op_CI_CI_unitstride_sbrr_R2C_dirReg
	.p2align	8
	.type	fft_rtc_back_len780_factors_2_3_13_5_2_wgs_234_tpt_78_halfLds_sp_op_CI_CI_unitstride_sbrr_R2C_dirReg,@function
fft_rtc_back_len780_factors_2_3_13_5_2_wgs_234_tpt_78_halfLds_sp_op_CI_CI_unitstride_sbrr_R2C_dirReg: ; @fft_rtc_back_len780_factors_2_3_13_5_2_wgs_234_tpt_78_halfLds_sp_op_CI_CI_unitstride_sbrr_R2C_dirReg
; %bb.0:
	s_load_dwordx4 s[12:15], s[4:5], 0x0
	v_mul_u32_u24_e32 v1, 0x349, v0
	s_clause 0x1
	s_load_dwordx4 s[8:11], s[4:5], 0x58
	s_load_dwordx4 s[16:19], s[4:5], 0x18
	v_mov_b32_e32 v5, 0
	v_lshrrev_b32_e32 v3, 16, v1
	v_mov_b32_e32 v1, 0
	v_mov_b32_e32 v2, 0
	v_mad_u64_u32 v[3:4], null, s6, 3, v[3:4]
	v_mov_b32_e32 v4, v5
	v_mov_b32_e32 v25, v2
	;; [unrolled: 1-line block ×5, first 2 shown]
	s_waitcnt lgkmcnt(0)
	v_cmp_lt_u64_e64 s0, s[14:15], 2
	s_and_b32 vcc_lo, exec_lo, s0
	s_cbranch_vccnz .LBB0_8
; %bb.1:
	s_load_dwordx2 s[0:1], s[4:5], 0x10
	v_mov_b32_e32 v1, 0
	v_mov_b32_e32 v2, 0
	s_add_u32 s2, s18, 8
	v_mov_b32_e32 v8, v4
	s_addc_u32 s3, s19, 0
	v_mov_b32_e32 v7, v3
	v_mov_b32_e32 v25, v2
	s_add_u32 s6, s16, 8
	v_mov_b32_e32 v24, v1
	s_addc_u32 s7, s17, 0
	s_mov_b64 s[22:23], 1
	s_waitcnt lgkmcnt(0)
	s_add_u32 s20, s0, 8
	s_addc_u32 s21, s1, 0
.LBB0_2:                                ; =>This Inner Loop Header: Depth=1
	s_load_dwordx2 s[24:25], s[20:21], 0x0
                                        ; implicit-def: $vgpr26_vgpr27
	s_mov_b32 s0, exec_lo
	s_waitcnt lgkmcnt(0)
	v_or_b32_e32 v6, s25, v8
	v_cmpx_ne_u64_e32 0, v[5:6]
	s_xor_b32 s1, exec_lo, s0
	s_cbranch_execz .LBB0_4
; %bb.3:                                ;   in Loop: Header=BB0_2 Depth=1
	v_cvt_f32_u32_e32 v4, s24
	v_cvt_f32_u32_e32 v6, s25
	s_sub_u32 s0, 0, s24
	s_subb_u32 s26, 0, s25
	v_fmac_f32_e32 v4, 0x4f800000, v6
	v_rcp_f32_e32 v4, v4
	v_mul_f32_e32 v4, 0x5f7ffffc, v4
	v_mul_f32_e32 v6, 0x2f800000, v4
	v_trunc_f32_e32 v6, v6
	v_fmac_f32_e32 v4, 0xcf800000, v6
	v_cvt_u32_f32_e32 v6, v6
	v_cvt_u32_f32_e32 v4, v4
	v_mul_lo_u32 v9, s0, v6
	v_mul_hi_u32 v10, s0, v4
	v_mul_lo_u32 v11, s26, v4
	v_add_nc_u32_e32 v9, v10, v9
	v_mul_lo_u32 v10, s0, v4
	v_add_nc_u32_e32 v9, v9, v11
	v_mul_hi_u32 v11, v4, v10
	v_mul_lo_u32 v12, v4, v9
	v_mul_hi_u32 v13, v4, v9
	v_mul_hi_u32 v14, v6, v10
	v_mul_lo_u32 v10, v6, v10
	v_mul_hi_u32 v15, v6, v9
	v_mul_lo_u32 v9, v6, v9
	v_add_co_u32 v11, vcc_lo, v11, v12
	v_add_co_ci_u32_e32 v12, vcc_lo, 0, v13, vcc_lo
	v_add_co_u32 v10, vcc_lo, v11, v10
	v_add_co_ci_u32_e32 v10, vcc_lo, v12, v14, vcc_lo
	v_add_co_ci_u32_e32 v11, vcc_lo, 0, v15, vcc_lo
	v_add_co_u32 v9, vcc_lo, v10, v9
	v_add_co_ci_u32_e32 v10, vcc_lo, 0, v11, vcc_lo
	v_add_co_u32 v4, vcc_lo, v4, v9
	v_add_co_ci_u32_e32 v6, vcc_lo, v6, v10, vcc_lo
	v_mul_hi_u32 v9, s0, v4
	v_mul_lo_u32 v11, s26, v4
	v_mul_lo_u32 v10, s0, v6
	v_add_nc_u32_e32 v9, v9, v10
	v_mul_lo_u32 v10, s0, v4
	v_add_nc_u32_e32 v9, v9, v11
	v_mul_hi_u32 v11, v4, v10
	v_mul_lo_u32 v12, v4, v9
	v_mul_hi_u32 v13, v4, v9
	v_mul_hi_u32 v14, v6, v10
	v_mul_lo_u32 v10, v6, v10
	v_mul_hi_u32 v15, v6, v9
	v_mul_lo_u32 v9, v6, v9
	v_add_co_u32 v11, vcc_lo, v11, v12
	v_add_co_ci_u32_e32 v12, vcc_lo, 0, v13, vcc_lo
	v_add_co_u32 v10, vcc_lo, v11, v10
	v_add_co_ci_u32_e32 v10, vcc_lo, v12, v14, vcc_lo
	v_add_co_ci_u32_e32 v11, vcc_lo, 0, v15, vcc_lo
	v_add_co_u32 v9, vcc_lo, v10, v9
	v_add_co_ci_u32_e32 v10, vcc_lo, 0, v11, vcc_lo
	v_add_co_u32 v4, vcc_lo, v4, v9
	v_add_co_ci_u32_e32 v6, vcc_lo, v6, v10, vcc_lo
	v_mul_hi_u32 v15, v7, v4
	v_mad_u64_u32 v[11:12], null, v8, v4, 0
	v_mad_u64_u32 v[9:10], null, v7, v6, 0
	;; [unrolled: 1-line block ×3, first 2 shown]
	v_add_co_u32 v4, vcc_lo, v15, v9
	v_add_co_ci_u32_e32 v6, vcc_lo, 0, v10, vcc_lo
	v_add_co_u32 v4, vcc_lo, v4, v11
	v_add_co_ci_u32_e32 v4, vcc_lo, v6, v12, vcc_lo
	v_add_co_ci_u32_e32 v6, vcc_lo, 0, v14, vcc_lo
	v_add_co_u32 v4, vcc_lo, v4, v13
	v_add_co_ci_u32_e32 v6, vcc_lo, 0, v6, vcc_lo
	v_mul_lo_u32 v11, s25, v4
	v_mad_u64_u32 v[9:10], null, s24, v4, 0
	v_mul_lo_u32 v12, s24, v6
	v_sub_co_u32 v9, vcc_lo, v7, v9
	v_add3_u32 v10, v10, v12, v11
	v_sub_nc_u32_e32 v11, v8, v10
	v_subrev_co_ci_u32_e64 v11, s0, s25, v11, vcc_lo
	v_add_co_u32 v12, s0, v4, 2
	v_add_co_ci_u32_e64 v13, s0, 0, v6, s0
	v_sub_co_u32 v14, s0, v9, s24
	v_sub_co_ci_u32_e32 v10, vcc_lo, v8, v10, vcc_lo
	v_subrev_co_ci_u32_e64 v11, s0, 0, v11, s0
	v_cmp_le_u32_e32 vcc_lo, s24, v14
	v_cmp_eq_u32_e64 s0, s25, v10
	v_cndmask_b32_e64 v14, 0, -1, vcc_lo
	v_cmp_le_u32_e32 vcc_lo, s25, v11
	v_cndmask_b32_e64 v15, 0, -1, vcc_lo
	v_cmp_le_u32_e32 vcc_lo, s24, v9
	;; [unrolled: 2-line block ×3, first 2 shown]
	v_cndmask_b32_e64 v16, 0, -1, vcc_lo
	v_cmp_eq_u32_e32 vcc_lo, s25, v11
	v_cndmask_b32_e64 v9, v16, v9, s0
	v_cndmask_b32_e32 v11, v15, v14, vcc_lo
	v_add_co_u32 v14, vcc_lo, v4, 1
	v_add_co_ci_u32_e32 v15, vcc_lo, 0, v6, vcc_lo
	v_cmp_ne_u32_e32 vcc_lo, 0, v11
	v_cndmask_b32_e32 v10, v15, v13, vcc_lo
	v_cndmask_b32_e32 v11, v14, v12, vcc_lo
	v_cmp_ne_u32_e32 vcc_lo, 0, v9
	v_cndmask_b32_e32 v27, v6, v10, vcc_lo
	v_cndmask_b32_e32 v26, v4, v11, vcc_lo
.LBB0_4:                                ;   in Loop: Header=BB0_2 Depth=1
	s_andn2_saveexec_b32 s0, s1
	s_cbranch_execz .LBB0_6
; %bb.5:                                ;   in Loop: Header=BB0_2 Depth=1
	v_cvt_f32_u32_e32 v4, s24
	s_sub_i32 s1, 0, s24
	v_mov_b32_e32 v27, v5
	v_rcp_iflag_f32_e32 v4, v4
	v_mul_f32_e32 v4, 0x4f7ffffe, v4
	v_cvt_u32_f32_e32 v4, v4
	v_mul_lo_u32 v6, s1, v4
	v_mul_hi_u32 v6, v4, v6
	v_add_nc_u32_e32 v4, v4, v6
	v_mul_hi_u32 v4, v7, v4
	v_mul_lo_u32 v6, v4, s24
	v_add_nc_u32_e32 v9, 1, v4
	v_sub_nc_u32_e32 v6, v7, v6
	v_subrev_nc_u32_e32 v10, s24, v6
	v_cmp_le_u32_e32 vcc_lo, s24, v6
	v_cndmask_b32_e32 v6, v6, v10, vcc_lo
	v_cndmask_b32_e32 v4, v4, v9, vcc_lo
	v_cmp_le_u32_e32 vcc_lo, s24, v6
	v_add_nc_u32_e32 v9, 1, v4
	v_cndmask_b32_e32 v26, v4, v9, vcc_lo
.LBB0_6:                                ;   in Loop: Header=BB0_2 Depth=1
	s_or_b32 exec_lo, exec_lo, s0
	v_mul_lo_u32 v4, v27, s24
	v_mul_lo_u32 v6, v26, s25
	s_load_dwordx2 s[0:1], s[6:7], 0x0
	v_mad_u64_u32 v[9:10], null, v26, s24, 0
	s_load_dwordx2 s[24:25], s[2:3], 0x0
	s_add_u32 s22, s22, 1
	s_addc_u32 s23, s23, 0
	s_add_u32 s2, s2, 8
	s_addc_u32 s3, s3, 0
	s_add_u32 s6, s6, 8
	v_add3_u32 v4, v10, v6, v4
	v_sub_co_u32 v6, vcc_lo, v7, v9
	s_addc_u32 s7, s7, 0
	s_add_u32 s20, s20, 8
	v_sub_co_ci_u32_e32 v4, vcc_lo, v8, v4, vcc_lo
	s_addc_u32 s21, s21, 0
	s_waitcnt lgkmcnt(0)
	v_mul_lo_u32 v7, s0, v4
	v_mul_lo_u32 v8, s1, v6
	v_mad_u64_u32 v[1:2], null, s0, v6, v[1:2]
	v_mul_lo_u32 v4, s24, v4
	v_mul_lo_u32 v9, s25, v6
	v_mad_u64_u32 v[24:25], null, s24, v6, v[24:25]
	v_cmp_ge_u64_e64 s0, s[22:23], s[14:15]
	v_add3_u32 v2, v8, v2, v7
	v_add3_u32 v25, v9, v25, v4
	s_and_b32 vcc_lo, exec_lo, s0
	s_cbranch_vccnz .LBB0_8
; %bb.7:                                ;   in Loop: Header=BB0_2 Depth=1
	v_mov_b32_e32 v7, v26
	v_mov_b32_e32 v8, v27
	s_branch .LBB0_2
.LBB0_8:
	s_load_dwordx2 s[0:1], s[4:5], 0x28
	v_mul_hi_u32 v4, 0xaaaaaaab, v3
	s_lshl_b64 s[4:5], s[14:15], 3
                                        ; implicit-def: $vgpr28
                                        ; implicit-def: $vgpr36
                                        ; implicit-def: $vgpr34
                                        ; implicit-def: $vgpr32
                                        ; implicit-def: $vgpr30
	s_add_u32 s2, s18, s4
	s_addc_u32 s3, s19, s5
	v_lshrrev_b32_e32 v4, 1, v4
	v_lshl_add_u32 v5, v4, 1, v4
	v_mul_hi_u32 v4, 0x3483484, v0
	v_sub_nc_u32_e32 v3, v3, v5
	s_waitcnt lgkmcnt(0)
	v_cmp_gt_u64_e32 vcc_lo, s[0:1], v[26:27]
	v_cmp_le_u64_e64 s0, s[0:1], v[26:27]
	s_and_saveexec_b32 s1, s0
	s_xor_b32 s0, exec_lo, s1
; %bb.9:
	v_mul_u32_u24_e32 v1, 0x4e, v4
                                        ; implicit-def: $vgpr4
	v_sub_nc_u32_e32 v28, v0, v1
                                        ; implicit-def: $vgpr0
                                        ; implicit-def: $vgpr1_vgpr2
	v_add_nc_u32_e32 v36, 0x4e, v28
	v_add_nc_u32_e32 v34, 0x9c, v28
	v_add_nc_u32_e32 v32, 0xea, v28
	v_add_nc_u32_e32 v30, 0x138, v28
; %bb.10:
	s_or_saveexec_b32 s1, s0
	v_mul_u32_u24_e32 v8, 0x30d, v3
	v_lshlrev_b32_e32 v29, 3, v8
	s_xor_b32 exec_lo, exec_lo, s1
	s_cbranch_execz .LBB0_12
; %bb.11:
	s_add_u32 s4, s16, s4
	s_addc_u32 s5, s17, s5
	v_lshlrev_b64 v[1:2], 3, v[1:2]
	s_load_dwordx2 s[4:5], s[4:5], 0x0
	s_waitcnt lgkmcnt(0)
	v_mul_lo_u32 v3, s5, v26
	v_mul_lo_u32 v7, s4, v27
	v_mad_u64_u32 v[5:6], null, s4, v26, 0
	v_add3_u32 v6, v6, v7, v3
	v_mul_u32_u24_e32 v7, 0x4e, v4
	v_lshlrev_b64 v[3:4], 3, v[5:6]
	v_sub_nc_u32_e32 v28, v0, v7
	v_lshlrev_b32_e32 v21, 3, v28
	v_add_co_u32 v0, s0, s8, v3
	v_add_co_ci_u32_e64 v3, s0, s9, v4, s0
	v_add_nc_u32_e32 v36, 0x4e, v28
	v_add_co_u32 v0, s0, v0, v1
	v_add_co_ci_u32_e64 v1, s0, v3, v2, s0
	v_add_nc_u32_e32 v34, 0x9c, v28
	v_add_co_u32 v0, s0, v0, v21
	v_add_co_ci_u32_e64 v1, s0, 0, v1, s0
	v_add3_u32 v21, 0, v29, v21
	v_add_co_u32 v2, s0, 0x800, v0
	v_add_co_ci_u32_e64 v3, s0, 0, v1, s0
	v_add_co_u32 v4, s0, 0x1000, v0
	v_add_co_ci_u32_e64 v5, s0, 0, v1, s0
	s_clause 0x9
	global_load_dwordx2 v[6:7], v[0:1], off
	global_load_dwordx2 v[9:10], v[0:1], off offset:624
	global_load_dwordx2 v[11:12], v[0:1], off offset:1248
	;; [unrolled: 1-line block ×9, first 2 shown]
	v_add_nc_u32_e32 v32, 0xea, v28
	v_add_nc_u32_e32 v30, 0x138, v28
	v_add_nc_u32_e32 v22, 0x800, v21
	v_add_nc_u32_e32 v23, 0xc00, v21
	v_add_nc_u32_e32 v31, 0x1000, v21
	s_waitcnt vmcnt(8)
	ds_write2_b64 v21, v[6:7], v[9:10] offset1:78
	s_waitcnt vmcnt(6)
	ds_write2_b64 v21, v[11:12], v[0:1] offset0:156 offset1:234
	s_waitcnt vmcnt(4)
	ds_write2_b64 v22, v[13:14], v[15:16] offset0:56 offset1:134
	;; [unrolled: 2-line block ×4, first 2 shown]
.LBB0_12:
	s_or_b32 exec_lo, exec_lo, s1
	v_lshlrev_b32_e32 v41, 3, v28
	v_add_nc_u32_e32 v39, 0, v29
	s_load_dwordx2 s[2:3], s[2:3], 0x0
	s_waitcnt lgkmcnt(0)
	s_barrier
	v_add3_u32 v42, 0, v41, v29
	v_add_nc_u32_e32 v40, v39, v41
	buffer_gl0_inv
	v_lshl_add_u32 v22, v32, 4, 0
	v_lshl_add_u32 v33, v36, 4, v39
	v_add_nc_u32_e32 v19, 0x800, v42
	v_add_nc_u32_e32 v23, 0x1000, v42
	;; [unrolled: 1-line block ×4, first 2 shown]
	v_lshl_add_u32 v35, v34, 4, v39
	ds_read2_b64 v[0:3], v19 offset0:134 offset1:212
	ds_read_b64 v[17:18], v40
	ds_read2_b64 v[4:7], v42 offset0:78 offset1:156
	ds_read2_b64 v[9:12], v23 offset0:34 offset1:112
	;; [unrolled: 1-line block ×3, first 2 shown]
	ds_read_b64 v[20:21], v42 offset:5616
	v_add_nc_u32_e32 v37, v22, v29
	v_lshl_add_u32 v38, v30, 4, v39
	s_waitcnt lgkmcnt(0)
	s_barrier
	buffer_gl0_inv
	v_cmp_gt_u32_e64 s0, 26, v28
	v_sub_f32_e32 v9, v6, v9
	v_sub_f32_e32 v0, v17, v0
	;; [unrolled: 1-line block ×10, first 2 shown]
	v_fma_f32 v17, v17, 2.0, -v0
	v_fma_f32 v18, v18, 2.0, -v1
	;; [unrolled: 1-line block ×10, first 2 shown]
	ds_write2_b64 v31, v[17:18], v[0:1] offset1:1
	ds_write2_b64 v33, v[4:5], v[2:3] offset1:1
	;; [unrolled: 1-line block ×5, first 2 shown]
	v_lshlrev_b32_e32 v0, 3, v36
	v_lshlrev_b32_e32 v1, 3, v34
	v_add_nc_u32_e32 v2, 0xc00, v42
	s_waitcnt lgkmcnt(0)
	s_barrier
	v_sub_nc_u32_e32 v44, v33, v0
	v_sub_nc_u32_e32 v43, v35, v1
	buffer_gl0_inv
	ds_read2_b64 v[16:19], v19 offset0:4 offset1:82
	ds_read2_b64 v[12:15], v2 offset0:32 offset1:136
	;; [unrolled: 1-line block ×3, first 2 shown]
	ds_read_b64 v[10:11], v40
	ds_read_b64 v[0:1], v44
	;; [unrolled: 1-line block ×3, first 2 shown]
	v_lshlrev_b32_e32 v31, 3, v32
                                        ; implicit-def: $vgpr9
                                        ; implicit-def: $vgpr23
	s_and_saveexec_b32 s1, s0
	s_cbranch_execz .LBB0_14
; %bb.13:
	v_sub_nc_u32_e32 v9, v22, v31
	v_lshl_add_u32 v8, v8, 3, v9
	ds_read_b64 v[22:23], v42 offset:3952
	ds_read_b64 v[20:21], v8
	ds_read_b64 v[8:9], v42 offset:6032
.LBB0_14:
	s_or_b32 exec_lo, exec_lo, s1
	v_and_b32_e32 v33, 1, v28
	v_lshrrev_b32_e32 v37, 1, v34
	v_lshrrev_b32_e32 v38, 1, v28
	v_lshlrev_b32_e32 v35, 4, v33
	v_mul_lo_u32 v37, v37, 6
	v_mul_u32_u24_e32 v38, 6, v38
	global_load_dwordx4 v[45:48], v35, s[12:13]
	v_lshrrev_b32_e32 v35, 1, v36
	v_or_b32_e32 v38, v38, v33
	s_waitcnt vmcnt(0) lgkmcnt(0)
	v_or_b32_e32 v37, v37, v33
	s_barrier
	v_mul_lo_u32 v35, v35, 6
	v_lshlrev_b32_e32 v38, 3, v38
	buffer_gl0_inv
	v_lshlrev_b32_e32 v37, 3, v37
	v_add3_u32 v49, 0, v38, v29
	v_add3_u32 v50, 0, v37, v29
	v_or_b32_e32 v35, v35, v33
	v_lshlrev_b32_e32 v35, 3, v35
	v_add3_u32 v35, 0, v35, v29
	v_mul_f32_e32 v37, v46, v17
	v_mul_f32_e32 v38, v46, v16
	;; [unrolled: 1-line block ×16, first 2 shown]
	v_fmac_f32_e32 v37, v45, v16
	v_fma_f32 v16, v45, v17, -v38
	v_fmac_f32_e32 v53, v45, v18
	v_fma_f32 v17, v45, v19, -v54
	;; [unrolled: 2-line block ×8, first 2 shown]
	v_add_f32_e32 v12, v37, v51
	v_sub_f32_e32 v15, v16, v14
	v_add_f32_e32 v13, v16, v11
	v_add_f32_e32 v16, v16, v14
	;; [unrolled: 1-line block ×3, first 2 shown]
	v_sub_f32_e32 v23, v17, v2
	v_add_f32_e32 v45, v1, v17
	v_add_f32_e32 v17, v17, v2
	;; [unrolled: 1-line block ×5, first 2 shown]
	v_sub_f32_e32 v60, v5, v8
	v_add_f32_e32 v63, v21, v5
	v_add_f32_e32 v5, v5, v8
	;; [unrolled: 1-line block ×3, first 2 shown]
	v_sub_f32_e32 v18, v37, v51
	v_add_f32_e32 v19, v0, v53
	v_sub_f32_e32 v46, v53, v55
	v_add_f32_e32 v47, v6, v57
	;; [unrolled: 2-line block ×4, first 2 shown]
	v_sub_f32_e32 v61, v61, v62
	v_fma_f32 v10, -0.5, v12, v10
	v_fmac_f32_e32 v11, -0.5, v16
	v_fma_f32 v0, -0.5, v22, v0
	v_fmac_f32_e32 v1, -0.5, v17
	;; [unrolled: 2-line block ×3, first 2 shown]
	v_fmac_f32_e32 v20, -0.5, v58
	v_fmac_f32_e32 v21, -0.5, v5
	v_add_f32_e32 v37, v9, v51
	v_add_f32_e32 v38, v13, v14
	;; [unrolled: 1-line block ×8, first 2 shown]
	v_fmamk_f32 v8, v15, 0xbf5db3d7, v10
	v_fmac_f32_e32 v10, 0x3f5db3d7, v15
	v_fmamk_f32 v9, v18, 0x3f5db3d7, v11
	v_fmac_f32_e32 v11, 0xbf5db3d7, v18
	;; [unrolled: 2-line block ×8, first 2 shown]
	ds_write2_b64 v49, v[37:38], v[8:9] offset1:2
	ds_write_b64 v49, v[10:11] offset:32
	ds_write2_b64 v35, v[12:13], v[14:15] offset1:2
	ds_write_b64 v35, v[0:1] offset:32
	;; [unrolled: 2-line block ×3, first 2 shown]
	s_and_saveexec_b32 s1, s0
	s_cbranch_execz .LBB0_16
; %bb.15:
	v_lshrrev_b32_e32 v22, 1, v32
	v_mul_lo_u32 v22, v22, 6
	v_or_b32_e32 v22, v22, v33
	v_lshlrev_b32_e32 v22, 3, v22
	v_add3_u32 v22, 0, v22, v29
	ds_write2_b64 v22, v[16:17], v[18:19] offset1:2
	ds_write_b64 v22, v[20:21] offset:32
.LBB0_16:
	s_or_b32 exec_lo, exec_lo, s1
	v_cmp_gt_u32_e64 s0, 60, v28
	s_waitcnt lgkmcnt(0)
	s_barrier
	buffer_gl0_inv
                                        ; implicit-def: $vgpr23
	s_and_saveexec_b32 s1, s0
	s_cbranch_execz .LBB0_18
; %bb.17:
	v_add_nc_u32_e32 v16, 0x1000, v42
	v_add_nc_u32_e32 v4, 0x800, v42
	ds_read2_b64 v[20:23], v16 offset0:148 offset1:208
	ds_read_b64 v[37:38], v40
	ds_read2_b64 v[8:11], v42 offset0:60 offset1:120
	ds_read2_b64 v[12:15], v42 offset0:180 offset1:240
	;; [unrolled: 1-line block ×5, first 2 shown]
.LBB0_18:
	s_or_b32 exec_lo, exec_lo, s1
	s_waitcnt lgkmcnt(0)
	s_barrier
	buffer_gl0_inv
	s_and_saveexec_b32 s1, s0
	s_cbranch_execz .LBB0_20
; %bb.19:
	v_and_b32_e32 v33, 0xff, v28
	v_mov_b32_e32 v45, 12
	v_mul_lo_u16 v33, 0xab, v33
	v_lshrrev_b16 v35, 10, v33
	v_mul_lo_u16 v33, v35, 6
	v_sub_nc_u16 v33, v28, v33
	v_mul_u32_u24_sdwa v45, v33, v45 dst_sel:DWORD dst_unused:UNUSED_PAD src0_sel:BYTE_0 src1_sel:DWORD
	v_lshlrev_b32_e32 v45, 3, v45
	s_clause 0x5
	global_load_dwordx4 v[57:60], v45, s[12:13] offset:32
	global_load_dwordx4 v[64:67], v45, s[12:13] offset:112
	;; [unrolled: 1-line block ×6, first 2 shown]
	s_waitcnt vmcnt(5)
	v_mul_f32_e32 v63, v9, v58
	v_mul_f32_e32 v55, v8, v58
	;; [unrolled: 1-line block ×4, first 2 shown]
	s_waitcnt vmcnt(4)
	v_mul_f32_e32 v45, v23, v67
	v_mul_f32_e32 v60, v22, v67
	s_waitcnt vmcnt(3)
	v_mul_f32_e32 v48, v17, v69
	v_mul_f32_e32 v46, v19, v71
	;; [unrolled: 1-line block ×6, first 2 shown]
	s_waitcnt vmcnt(2)
	v_mul_f32_e32 v54, v13, v73
	v_mul_f32_e32 v69, v12, v73
	;; [unrolled: 1-line block ×4, first 2 shown]
	s_waitcnt vmcnt(1)
	v_mul_f32_e32 v52, v1, v77
	s_waitcnt vmcnt(0)
	v_mul_f32_e32 v49, v7, v83
	v_mul_f32_e32 v73, v6, v83
	;; [unrolled: 1-line block ×6, first 2 shown]
	v_fmac_f32_e32 v63, v8, v57
	v_fma_f32 v81, v9, v57, -v55
	v_fmac_f32_e32 v48, v16, v68
	v_fmac_f32_e32 v45, v22, v66
	v_fma_f32 v16, v23, v66, -v60
	v_mul_f32_e32 v79, v2, v79
	v_fmac_f32_e32 v58, v10, v59
	v_fma_f32 v65, v11, v59, -v56
	v_fmac_f32_e32 v46, v18, v70
	v_fma_f32 v18, v19, v70, -v61
	v_fma_f32 v19, v17, v68, -v62
	v_fmac_f32_e32 v47, v20, v64
	v_fma_f32 v17, v21, v64, -v67
	v_fmac_f32_e32 v54, v12, v72
	;; [unrolled: 2-line block ×4, first 2 shown]
	v_fmac_f32_e32 v49, v6, v82
	v_fma_f32 v12, v7, v82, -v73
	v_fmac_f32_e32 v51, v2, v78
	v_fmac_f32_e32 v50, v4, v80
	v_sub_f32_e32 v7, v63, v45
	v_add_f32_e32 v55, v81, v16
	v_sub_f32_e32 v67, v81, v16
	v_add_f32_e32 v71, v38, v81
	v_add_f32_e32 v72, v37, v63
	v_fma_f32 v15, v1, v76, -v75
	v_fma_f32 v13, v5, v80, -v77
	;; [unrolled: 1-line block ×3, first 2 shown]
	v_sub_f32_e32 v2, v58, v47
	v_add_f32_e32 v56, v65, v17
	v_sub_f32_e32 v1, v54, v46
	v_sub_f32_e32 v0, v53, v48
	v_add_f32_e32 v6, v63, v45
	v_add_f32_e32 v5, v58, v47
	v_sub_f32_e32 v70, v65, v17
	v_sub_f32_e32 v8, v52, v49
	;; [unrolled: 1-line block ×3, first 2 shown]
	v_mul_f32_e32 v73, 0xbf29c268, v7
	v_mul_f32_e32 v75, 0xbf29c268, v67
	;; [unrolled: 1-line block ×11, first 2 shown]
	v_add_f32_e32 v65, v71, v65
	v_add_f32_e32 v58, v72, v58
	;; [unrolled: 1-line block ×5, first 2 shown]
	v_sub_f32_e32 v60, v23, v18
	v_add_f32_e32 v57, v15, v12
	v_add_f32_e32 v59, v14, v13
	v_mul_f32_e32 v74, 0x3f7e222b, v2
	v_mul_f32_e32 v76, 0xbf52af12, v1
	;; [unrolled: 1-line block ×16, first 2 shown]
	v_fmamk_f32 v133, v55, 0xbf3f9e67, v73
	v_fma_f32 v134, 0xbf3f9e67, v6, -v75
	v_fmamk_f32 v137, v7, 0x3e750f2a, v85
	v_fma_f32 v55, 0xbf3f9e67, v55, -v73
	v_fmamk_f32 v73, v6, 0xbf788fa5, v87
	v_fmac_f32_e32 v75, 0xbf3f9e67, v6
	v_add_f32_e32 v23, v65, v23
	v_fmamk_f32 v65, v7, 0x3f6f5d39, v97
	v_add_f32_e32 v54, v58, v54
	v_fmamk_f32 v139, v6, 0xbeb58ec6, v99
	v_fmamk_f32 v141, v7, 0x3f7e222b, v109
	;; [unrolled: 1-line block ×6, first 2 shown]
	v_add_f32_e32 v3, v53, v48
	v_sub_f32_e32 v61, v20, v19
	v_mul_f32_e32 v79, 0xbf52af12, v60
	v_mul_f32_e32 v89, 0xbf3f9e67, v21
	;; [unrolled: 1-line block ×27, first 2 shown]
	v_fmamk_f32 v135, v56, 0x3df6dbef, v74
	v_fma_f32 v136, 0x3df6dbef, v5, -v78
	v_fmamk_f32 v138, v2, 0xbeedf032, v86
	v_fma_f32 v56, 0x3df6dbef, v56, -v74
	v_fmamk_f32 v74, v5, 0x3f62ad3f, v88
	v_fmac_f32_e32 v78, 0x3df6dbef, v5
	v_fmamk_f32 v58, v2, 0xbf29c268, v98
	v_fmamk_f32 v140, v5, 0xbf3f9e67, v100
	;; [unrolled: 1-line block ×8, first 2 shown]
	v_fmac_f32_e32 v85, 0xbe750f2a, v7
	v_fma_f32 v87, 0xbf788fa5, v6, -v87
	v_fmac_f32_e32 v97, 0xbf6f5d39, v7
	v_fma_f32 v99, 0xbeb58ec6, v6, -v99
	v_fmamk_f32 v153, v21, 0x3f116cb1, v76
	v_fma_f32 v21, 0x3f116cb1, v21, -v76
	v_fmamk_f32 v76, v22, 0xbf788fa5, v77
	;; [unrolled: 2-line block ×4, first 2 shown]
	v_fma_f32 v59, 0xbeb58ec6, v59, -v83
	v_fmac_f32_e32 v109, 0xbf7e222b, v7
	v_fma_f32 v83, 0x3df6dbef, v6, -v111
	v_add_f32_e32 v20, v23, v20
	v_add_f32_e32 v133, v38, v133
	;; [unrolled: 1-line block ×15, first 2 shown]
	v_sub_f32_e32 v64, v15, v12
	v_add_f32_e32 v10, v52, v49
	v_mul_f32_e32 v80, 0x3e750f2a, v61
	v_mul_f32_e32 v92, 0x3f52af12, v61
	;; [unrolled: 1-line block ×6, first 2 shown]
	v_fmamk_f32 v146, v2, 0x3f6f5d39, v122
	v_fmac_f32_e32 v86, 0x3eedf032, v2
	v_fma_f32 v88, 0x3f62ad3f, v5, -v88
	v_fmac_f32_e32 v98, 0x3f29c268, v2
	v_fma_f32 v100, 0xbf3f9e67, v5, -v100
	;; [unrolled: 2-line block ×3, first 2 shown]
	v_fma_f32 v112, 0x3f116cb1, v4, -v79
	v_fmamk_f32 v134, v1, 0x3f29c268, v89
	v_add_f32_e32 v133, v135, v133
	v_fmamk_f32 v135, v4, 0xbf3f9e67, v90
	v_add_f32_e32 v54, v136, v54
	v_add_f32_e32 v137, v138, v137
	v_fmac_f32_e32 v79, 0x3f116cb1, v4
	v_add_f32_e32 v73, v74, v73
	v_fmamk_f32 v74, v1, 0xbeedf032, v101
	v_add_f32_e32 v55, v56, v55
	v_fmamk_f32 v56, v4, 0x3f62ad3f, v102
	;; [unrolled: 2-line block ×4, first 2 shown]
	v_add_f32_e32 v139, v140, v139
	v_add_f32_e32 v141, v142, v141
	;; [unrolled: 1-line block ×4, first 2 shown]
	v_fmamk_f32 v144, v1, 0x3f7e222b, v129
	v_add_f32_e32 v147, v148, v147
	v_fmamk_f32 v148, v4, 0x3df6dbef, v60
	v_add_f32_e32 v149, v150, v149
	v_add_f32_e32 v85, v38, v85
	;; [unrolled: 1-line block ×10, first 2 shown]
	v_sub_f32_e32 v62, v14, v13
	v_mul_f32_e32 v82, 0x3eedf032, v64
	v_mul_f32_e32 v94, 0xbf6f5d39, v64
	;; [unrolled: 1-line block ×6, first 2 shown]
	v_fma_f32 v23, 0xbf788fa5, v3, -v80
	v_add_f32_e32 v145, v146, v145
	v_fmamk_f32 v146, v0, 0xbf52af12, v91
	v_fmamk_f32 v150, v3, 0x3f116cb1, v92
	v_fmac_f32_e32 v89, 0xbf29c268, v1
	v_fma_f32 v90, 0xbf3f9e67, v4, -v90
	v_fmac_f32_e32 v101, 0x3eedf032, v1
	v_add_f32_e32 v85, v86, v85
	v_add_f32_e32 v87, v88, v87
	;; [unrolled: 1-line block ×3, first 2 shown]
	v_fmac_f32_e32 v80, 0xbf788fa5, v3
	v_add_f32_e32 v99, v100, v99
	v_fmamk_f32 v100, v0, 0x3f7e222b, v103
	v_fmac_f32_e32 v113, 0x3f6f5d39, v1
	v_fmamk_f32 v20, v3, 0x3df6dbef, v104
	v_fma_f32 v114, 0xbeb58ec6, v4, -v114
	v_add_f32_e32 v109, v110, v109
	v_add_f32_e32 v83, v111, v83
	;; [unrolled: 1-line block ×3, first 2 shown]
	v_fmamk_f32 v153, v0, 0xbeedf032, v115
	v_add_f32_e32 v54, v112, v54
	v_fmamk_f32 v112, v3, 0x3f62ad3f, v116
	v_add_f32_e32 v134, v134, v137
	v_add_f32_e32 v73, v135, v73
	v_add_f32_e32 v21, v21, v55
	v_add_f32_e32 v75, v79, v75
	v_add_f32_e32 v58, v74, v58
	v_add_f32_e32 v56, v56, v139
	v_add_f32_e32 v78, v78, v141
	v_fmamk_f32 v141, v0, 0x3f6f5d39, v130
	v_add_f32_e32 v65, v65, v143
	v_fmamk_f32 v143, v3, 0xbeb58ec6, v61
	v_add_f32_e32 v144, v144, v149
	v_add_f32_e32 v148, v148, v151
	;; [unrolled: 1-line block ×5, first 2 shown]
	v_mul_f32_e32 v84, 0xbf6f5d39, v62
	v_fma_f32 v136, 0x3f62ad3f, v10, -v82
	v_fmamk_f32 v152, v8, 0x3f6f5d39, v93
	v_fmamk_f32 v86, v10, 0xbeb58ec6, v94
	;; [unrolled: 1-line block ×5, first 2 shown]
	v_fmac_f32_e32 v91, 0x3f52af12, v0
	v_fma_f32 v92, 0x3f116cb1, v3, -v92
	v_fmac_f32_e32 v103, 0xbf7e222b, v0
	v_add_f32_e32 v85, v89, v85
	v_fmamk_f32 v89, v8, 0x3f29c268, v131
	v_add_f32_e32 v87, v90, v87
	v_fmamk_f32 v90, v10, 0xbf3f9e67, v64
	v_add_f32_e32 v97, v101, v97
	v_fmac_f32_e32 v115, 0x3eedf032, v0
	v_fma_f32 v116, 0x3f62ad3f, v3, -v116
	v_add_f32_e32 v51, v113, v109
	v_add_f32_e32 v52, v114, v83
	;; [unrolled: 1-line block ×15, first 2 shown]
	v_fma_f32 v138, 0xbeb58ec6, v11, -v84
	v_fmamk_f32 v140, v1, 0x3e750f2a, v125
	v_fmamk_f32 v111, v9, 0xbf52af12, v107
	v_add_f32_e32 v83, v91, v85
	v_add_f32_e32 v85, v92, v87
	v_add_f32_e32 v87, v103, v97
	v_add_f32_e32 v92, v115, v51
	v_add_f32_e32 v97, v116, v52
	v_add_f32_e32 v23, v136, v23
	v_add_f32_e32 v50, v152, v54
	v_add_f32_e32 v51, v86, v73
	v_add_f32_e32 v52, v53, v58
	v_add_f32_e32 v54, v137, v56
	v_add_f32_e32 v56, v135, v65
	v_add_f32_e32 v65, v89, v78
	v_add_f32_e32 v73, v90, v80
	v_add_f32_e32 v78, v13, v12
	v_add_f32_e32 v80, v14, v49
	v_fmac_f32_e32 v121, 0xbf52af12, v7
	v_fmamk_f32 v142, v4, 0xbf788fa5, v126
	v_fmamk_f32 v55, v9, 0x3f29c268, v119
	v_fmamk_f32 v74, v0, 0xbf29c268, v127
	v_add_f32_e32 v140, v140, v145
	v_add_f32_e32 v12, v138, v23
	;; [unrolled: 1-line block ×5, first 2 shown]
	v_mul_f32_e32 v96, 0x3f7e222b, v62
	v_mul_f32_e32 v120, 0xbf29c268, v62
	v_fmac_f32_e32 v122, 0xbf6f5d39, v2
	v_add_f32_e32 v121, v38, v121
	v_fmamk_f32 v139, v3, 0xbf3f9e67, v66
	v_fmamk_f32 v145, v8, 0xbf7e222b, v70
	v_add_f32_e32 v142, v142, v147
	v_add_f32_e32 v74, v74, v140
	;; [unrolled: 1-line block ×5, first 2 shown]
	v_mul_f32_e32 v128, 0x3eedf032, v62
	v_fmamk_f32 v98, v11, 0x3df6dbef, v96
	v_add_f32_e32 v121, v122, v121
	v_fmamk_f32 v79, v11, 0xbf3f9e67, v120
	v_fmamk_f32 v147, v10, 0x3df6dbef, v71
	;; [unrolled: 1-line block ×4, first 2 shown]
	v_fma_f32 v118, 0x3f116cb1, v10, -v118
	v_fmac_f32_e32 v125, 0xbe750f2a, v1
	v_add_f32_e32 v76, v76, v133
	v_add_f32_e32 v75, v139, v142
	;; [unrolled: 1-line block ×6, first 2 shown]
	v_fma_f32 v55, 0x3f116cb1, v6, -v123
	v_fmamk_f32 v88, v9, 0xbf7e222b, v95
	v_fmamk_f32 v151, v11, 0x3f62ad3f, v128
	v_add_f32_e32 v15, v77, v76
	v_add_f32_e32 v58, v147, v75
	;; [unrolled: 1-line block ×10, first 2 shown]
	v_fmac_f32_e32 v127, 0x3f29c268, v0
	v_add_f32_e32 v56, v118, v97
	v_fma_f32 v57, 0xbf3f9e67, v11, -v120
	v_add_f32_e32 v59, v37, v55
	v_fma_f32 v65, 0xbeb58ec6, v5, -v124
	v_fmac_f32_e32 v68, 0xbeedf032, v7
	v_add_f32_e32 v13, v81, v15
	v_add_f32_e32 v15, v88, v50
	;; [unrolled: 1-line block ×6, first 2 shown]
	v_fma_f32 v56, 0xbf788fa5, v4, -v126
	v_fma_f32 v6, 0x3f62ad3f, v6, -v69
	v_add_f32_e32 v38, v38, v68
	v_fmac_f32_e32 v63, 0xbf52af12, v2
	v_fma_f32 v5, 0x3f116cb1, v5, -v67
	v_add_f32_e32 v2, v56, v7
	v_fma_f32 v7, 0xbf3f9e67, v3, -v66
	v_add_f32_e32 v6, v37, v6
	v_add_f32_e32 v37, v63, v38
	v_fmac_f32_e32 v129, 0xbf7e222b, v1
	v_fma_f32 v102, 0x3f62ad3f, v4, -v102
	v_add_f32_e32 v1, v7, v2
	v_fma_f32 v2, 0x3df6dbef, v10, -v71
	v_add_f32_e32 v5, v5, v6
	;; [unrolled: 2-line block ×3, first 2 shown]
	v_fmac_f32_e32 v130, 0xbf6f5d39, v0
	v_fma_f32 v104, 0x3df6dbef, v3, -v104
	v_add_f32_e32 v99, v102, v99
	v_mul_f32_e32 v108, 0x3f52af12, v62
	v_mul_f32_e32 v62, 0xbe750f2a, v62
	v_fmac_f32_e32 v117, 0xbf52af12, v8
	v_add_f32_e32 v0, v2, v1
	v_add_f32_e32 v1, v4, v5
	v_fma_f32 v3, 0xbeb58ec6, v3, -v61
	v_add_f32_e32 v4, v130, v6
	v_and_b32_e32 v5, 0xffff, v35
	v_mov_b32_e32 v6, 3
	v_fmac_f32_e32 v82, 0x3f62ad3f, v10
	v_fmamk_f32 v110, v10, 0xbf788fa5, v106
	v_fmac_f32_e32 v93, 0xbf6f5d39, v8
	v_fma_f32 v94, 0xbeb58ec6, v10, -v94
	v_fmac_f32_e32 v105, 0x3e750f2a, v8
	v_fma_f32 v106, 0xbf788fa5, v10, -v106
	v_add_f32_e32 v91, v104, v99
	v_fmamk_f32 v102, v11, 0xbf788fa5, v62
	v_add_f32_e32 v45, v117, v92
	v_fmac_f32_e32 v119, 0xbf29c268, v9
	v_fmac_f32_e32 v70, 0x3f7e222b, v8
	;; [unrolled: 1-line block ×3, first 2 shown]
	v_add_f32_e32 v1, v3, v1
	v_fma_f32 v3, 0xbf3f9e67, v10, -v64
	v_mad_u32_u24 v5, 0x270, v5, 0
	v_lshlrev_b32_sdwa v6, v6, v33 dst_sel:DWORD dst_unused:UNUSED_PAD src0_sel:DWORD src1_sel:BYTE_0
	v_fmac_f32_e32 v84, 0xbeb58ec6, v11
	v_fmamk_f32 v122, v11, 0x3f116cb1, v108
	v_add_f32_e32 v22, v82, v22
	v_add_f32_e32 v53, v110, v20
	v_fmac_f32_e32 v95, 0x3f7e222b, v9
	v_fma_f32 v96, 0x3df6dbef, v11, -v96
	v_add_f32_e32 v74, v93, v83
	v_add_f32_e32 v75, v94, v85
	v_fmac_f32_e32 v107, 0x3f52af12, v9
	v_fma_f32 v108, 0x3f116cb1, v11, -v108
	v_add_f32_e32 v76, v105, v87
	v_add_f32_e32 v77, v106, v91
	;; [unrolled: 1-line block ×5, first 2 shown]
	v_fmac_f32_e32 v72, 0x3eedf032, v9
	v_fma_f32 v2, 0x3f62ad3f, v11, -v128
	v_add_f32_e32 v4, v131, v4
	v_fmac_f32_e32 v132, 0xbe750f2a, v9
	v_add_f32_e32 v7, v3, v1
	v_fma_f32 v8, 0xbf788fa5, v11, -v62
	v_add3_u32 v5, v5, v6, v29
	v_add_f32_e32 v20, v84, v22
	v_add_f32_e32 v22, v122, v53
	;; [unrolled: 1-line block ×10, first 2 shown]
	ds_write2_b64 v5, v[16:17], v[18:19] offset1:6
	ds_write2_b64 v5, v[50:51], v[48:49] offset0:12 offset1:18
	ds_write2_b64 v5, v[22:23], v[20:21] offset0:24 offset1:30
	;; [unrolled: 1-line block ×5, first 2 shown]
	ds_write_b64 v5, v[2:3] offset:576
.LBB0_20:
	s_or_b32 exec_lo, exec_lo, s1
	v_lshlrev_b32_e32 v0, 2, v28
	v_mov_b32_e32 v1, 0
	s_waitcnt lgkmcnt(0)
	s_barrier
	buffer_gl0_inv
	v_add3_u32 v10, 0, v31, v29
	v_lshlrev_b64 v[2:3], 3, v[0:1]
	v_lshlrev_b32_e32 v0, 3, v30
	v_mov_b32_e32 v37, v1
	v_add_nc_u32_e32 v23, 0x800, v42
	v_mov_b32_e32 v35, v1
	v_add_nc_u32_e32 v67, 0x1000, v42
	v_add_co_u32 v2, s0, s12, v2
	v_add_co_ci_u32_e64 v3, s0, s13, v3, s0
	v_add3_u32 v69, 0, v0, v29
	v_mov_b32_e32 v29, v1
	s_clause 0x1
	global_load_dwordx4 v[11:14], v[2:3], off offset:608
	global_load_dwordx4 v[15:18], v[2:3], off offset:624
	v_mov_b32_e32 v31, v1
	v_lshlrev_b64 v[6:7], 3, v[36:37]
	v_lshlrev_b64 v[8:9], 3, v[28:29]
	v_mov_b32_e32 v33, v1
	ds_read_b64 v[49:50], v40
	ds_read_b64 v[51:52], v43
	;; [unrolled: 1-line block ×3, first 2 shown]
	ds_read_b64 v[55:56], v42 offset:5616
	ds_read2_b64 v[19:22], v23 offset0:134 offset1:212
	ds_read2_b64 v[45:48], v67 offset0:34 offset1:112
	v_lshlrev_b64 v[4:5], 3, v[34:35]
	v_add_co_u32 v29, s0, s12, v8
	ds_read_b64 v[57:58], v69
	ds_read_b64 v[59:60], v10
	v_lshlrev_b64 v[0:1], 3, v[30:31]
	v_add_co_ci_u32_e64 v31, s0, s13, v9, s0
	v_lshlrev_b64 v[2:3], 3, v[32:33]
	v_add_co_u32 v33, s0, s12, v6
	v_add_co_ci_u32_e64 v35, s0, s13, v7, s0
	v_add_co_u32 v63, s0, s12, v4
	v_add_co_ci_u32_e64 v64, s0, s13, v5, s0
	;; [unrolled: 2-line block ×7, first 2 shown]
	v_add_co_u32 v65, s0, 0x800, v65
	v_add_nc_u32_e32 v68, 0xc00, v42
	v_add_co_ci_u32_e64 v66, s0, 0, v66, s0
	s_waitcnt vmcnt(0) lgkmcnt(0)
	s_barrier
	buffer_gl0_inv
	s_add_u32 s1, s12, 0x1850
	s_addc_u32 s4, s13, 0
	s_mov_b32 s5, exec_lo
	v_mul_f32_e32 v29, v12, v52
	v_mul_f32_e32 v31, v12, v51
	;; [unrolled: 1-line block ×16, first 2 shown]
	v_fmac_f32_e32 v29, v11, v51
	v_fma_f32 v31, v11, v52, -v31
	v_fmac_f32_e32 v33, v13, v57
	v_fma_f32 v35, v13, v58, -v35
	;; [unrolled: 2-line block ×8, first 2 shown]
	v_add_f32_e32 v12, v49, v29
	v_add_f32_e32 v13, v33, v72
	v_sub_f32_e32 v15, v29, v33
	v_sub_f32_e32 v16, v74, v72
	v_add_f32_e32 v22, v50, v31
	v_add_f32_e32 v45, v35, v21
	;; [unrolled: 1-line block ×4, first 2 shown]
	v_sub_f32_e32 v18, v33, v29
	v_sub_f32_e32 v19, v72, v74
	v_add_f32_e32 v59, v53, v76
	v_add_f32_e32 v60, v77, v78
	v_add_f32_e32 v82, v76, v79
	v_add_f32_e32 v85, v54, v11
	v_add_f32_e32 v86, v14, v20
	v_add_f32_e32 v90, v11, v48
	v_sub_f32_e32 v46, v31, v47
	v_sub_f32_e32 v29, v29, v74
	;; [unrolled: 1-line block ×6, first 2 shown]
	v_add_f32_e32 v33, v12, v33
	v_fma_f32 v11, -0.5, v13, v49
	v_add_f32_e32 v93, v15, v16
	v_add_f32_e32 v16, v22, v35
	v_fma_f32 v12, -0.5, v45, v50
	v_sub_f32_e32 v51, v35, v21
	v_fma_f32 v49, -0.5, v17, v49
	v_fmac_f32_e32 v50, -0.5, v57
	v_sub_f32_e32 v75, v14, v20
	v_sub_f32_e32 v80, v76, v77
	;; [unrolled: 1-line block ×5, first 2 shown]
	v_add_f32_e32 v94, v18, v19
	v_add_f32_e32 v19, v59, v77
	v_fma_f32 v13, -0.5, v60, v53
	v_fma_f32 v53, -0.5, v82, v53
	v_add_f32_e32 v22, v85, v14
	v_fma_f32 v14, -0.5, v86, v54
	v_fmac_f32_e32 v54, -0.5, v90
	v_sub_f32_e32 v55, v31, v35
	v_sub_f32_e32 v56, v47, v21
	v_fmamk_f32 v15, v46, 0xbf737871, v11
	v_add_f32_e32 v59, v16, v21
	v_fmamk_f32 v16, v29, 0x3f737871, v12
	v_sub_f32_e32 v31, v35, v31
	v_sub_f32_e32 v58, v21, v47
	v_fmamk_f32 v17, v51, 0x3f737871, v49
	v_fmac_f32_e32 v49, 0xbf737871, v51
	v_fmamk_f32 v18, v52, 0xbf737871, v50
	v_fmac_f32_e32 v50, 0x3f737871, v52
	v_fmac_f32_e32 v11, 0x3f737871, v46
	;; [unrolled: 1-line block ×3, first 2 shown]
	v_sub_f32_e32 v81, v79, v78
	v_sub_f32_e32 v84, v78, v79
	;; [unrolled: 1-line block ×4, first 2 shown]
	v_add_f32_e32 v33, v33, v72
	v_add_f32_e32 v60, v19, v78
	v_fmamk_f32 v19, v73, 0xbf737871, v13
	v_fmamk_f32 v21, v75, 0x3f737871, v53
	v_add_f32_e32 v72, v22, v20
	v_fmamk_f32 v20, v76, 0x3f737871, v14
	v_fmamk_f32 v22, v87, 0xbf737871, v54
	v_fmac_f32_e32 v13, 0x3f737871, v73
	v_fmac_f32_e32 v53, 0xbf737871, v75
	;; [unrolled: 1-line block ×4, first 2 shown]
	v_add_f32_e32 v35, v55, v56
	v_fmac_f32_e32 v15, 0xbf167918, v51
	v_fmac_f32_e32 v16, 0x3f167918, v52
	v_add_f32_e32 v31, v31, v58
	v_fmac_f32_e32 v17, 0xbf167918, v46
	v_fmac_f32_e32 v49, 0x3f167918, v46
	;; [unrolled: 1-line block ×6, first 2 shown]
	v_add_f32_e32 v55, v80, v81
	v_add_f32_e32 v56, v83, v84
	;; [unrolled: 1-line block ×4, first 2 shown]
	v_fmac_f32_e32 v19, 0xbf167918, v75
	v_fmac_f32_e32 v21, 0xbf167918, v73
	;; [unrolled: 1-line block ×8, first 2 shown]
	v_add_f32_e32 v45, v33, v74
	v_add_f32_e32 v46, v59, v47
	v_fmac_f32_e32 v15, 0x3e9e377a, v93
	v_fmac_f32_e32 v16, 0x3e9e377a, v35
	;; [unrolled: 1-line block ×6, first 2 shown]
	v_add_f32_e32 v47, v60, v79
	v_add_f32_e32 v48, v72, v48
	v_fmac_f32_e32 v11, 0x3e9e377a, v93
	v_fmac_f32_e32 v12, 0x3e9e377a, v35
	;; [unrolled: 1-line block ×10, first 2 shown]
	ds_write2_b64 v42, v[45:46], v[15:16] offset1:78
	ds_write2_b64 v42, v[17:18], v[49:50] offset0:156 offset1:234
	ds_write2_b64 v23, v[11:12], v[47:48] offset0:56 offset1:134
	ds_write2_b64 v68, v[19:20], v[21:22] offset0:84 offset1:162
	ds_write2_b64 v67, v[53:54], v[13:14] offset0:112 offset1:190
	v_add_co_u32 v11, s0, 0x800, v70
	s_waitcnt lgkmcnt(0)
	s_barrier
	buffer_gl0_inv
	s_clause 0x1
	global_load_dwordx2 v[19:20], v[37:38], off offset:1056
	global_load_dwordx2 v[21:22], v[61:62], off offset:1056
	v_add_co_ci_u32_e64 v12, s0, 0, v71, s0
	s_clause 0x2
	global_load_dwordx2 v[37:38], v[63:64], off offset:1056
	global_load_dwordx2 v[45:46], v[65:66], off offset:1056
	;; [unrolled: 1-line block ×3, first 2 shown]
	ds_read2_b64 v[11:14], v23 offset0:134 offset1:212
	ds_read2_b64 v[15:18], v67 offset0:34 offset1:112
	ds_read_b64 v[49:50], v43
	ds_read_b64 v[51:52], v42 offset:5616
	ds_read_b64 v[53:54], v44
	ds_read_b64 v[55:56], v40
	;; [unrolled: 1-line block ×4, first 2 shown]
	s_waitcnt vmcnt(0) lgkmcnt(0)
	s_barrier
	buffer_gl0_inv
	v_mul_f32_e32 v23, v20, v12
	v_mul_f32_e32 v20, v20, v11
	;; [unrolled: 1-line block ×10, first 2 shown]
	v_fmac_f32_e32 v23, v19, v11
	v_fma_f32 v12, v19, v12, -v20
	v_fmac_f32_e32 v29, v21, v13
	v_fma_f32 v14, v21, v14, -v22
	;; [unrolled: 2-line block ×5, first 2 shown]
	v_sub_f32_e32 v11, v55, v23
	v_sub_f32_e32 v12, v56, v12
	;; [unrolled: 1-line block ×10, first 2 shown]
	v_fma_f32 v21, v55, 2.0, -v11
	v_fma_f32 v22, v56, 2.0, -v12
	;; [unrolled: 1-line block ×10, first 2 shown]
	ds_write_b64 v42, v[11:12] offset:3120
	ds_write_b64 v42, v[21:22]
	ds_write_b64 v44, v[37:38]
	ds_write_b64 v44, v[13:14] offset:3120
	ds_write_b64 v43, v[45:46]
	ds_write_b64 v43, v[15:16] offset:3120
	;; [unrolled: 2-line block ×4, first 2 shown]
	s_waitcnt lgkmcnt(0)
	s_barrier
	buffer_gl0_inv
	ds_read_b64 v[12:13], v40
	v_sub_nc_u32_e32 v14, v39, v41
                                        ; implicit-def: $vgpr10
                                        ; implicit-def: $vgpr15
                                        ; implicit-def: $vgpr16
	v_cmpx_ne_u32_e32 0, v28
	s_xor_b32 s5, exec_lo, s5
	s_cbranch_execz .LBB0_22
; %bb.21:
	v_add_co_u32 v8, s0, s1, v8
	v_add_co_ci_u32_e64 v9, s0, s4, v9, s0
	ds_read_b64 v[10:11], v14 offset:6240
	global_load_dwordx2 v[8:9], v[8:9], off
	s_waitcnt lgkmcnt(0)
	v_sub_f32_e32 v15, v12, v10
	v_add_f32_e32 v16, v11, v13
	v_sub_f32_e32 v11, v13, v11
	v_add_f32_e32 v10, v10, v12
	v_mul_f32_e32 v13, 0.5, v15
	v_mul_f32_e32 v12, 0.5, v16
	;; [unrolled: 1-line block ×3, first 2 shown]
	s_waitcnt vmcnt(0)
	v_mul_f32_e32 v16, v9, v13
	v_fma_f32 v17, v12, v9, v11
	v_fma_f32 v9, v12, v9, -v11
	v_fma_f32 v15, 0.5, v10, v16
	v_fma_f32 v10, v10, 0.5, -v16
	v_fma_f32 v16, -v8, v13, v17
	v_fma_f32 v11, -v8, v13, v9
	v_fmac_f32_e32 v15, v8, v12
	v_fma_f32 v10, -v8, v12, v10
                                        ; implicit-def: $vgpr12_vgpr13
.LBB0_22:
	s_andn2_saveexec_b32 s0, s5
	s_cbranch_execz .LBB0_24
; %bb.23:
	ds_read_b32 v8, v39 offset:3124
	s_waitcnt lgkmcnt(1)
	v_add_f32_e32 v15, v12, v13
	v_sub_f32_e32 v10, v12, v13
	v_mov_b32_e32 v16, 0
	v_mov_b32_e32 v11, 0
	s_waitcnt lgkmcnt(0)
	v_xor_b32_e32 v8, 0x80000000, v8
	ds_write_b32 v39, v8 offset:3124
.LBB0_24:
	s_or_b32 exec_lo, exec_lo, s0
	v_add_co_u32 v6, s0, s1, v6
	v_add_co_ci_u32_e64 v7, s0, s4, v7, s0
	v_add_co_u32 v4, s0, s1, v4
	v_add_co_ci_u32_e64 v5, s0, s4, v5, s0
	global_load_dwordx2 v[6:7], v[6:7], off
	v_add_co_u32 v2, s0, s1, v2
	global_load_dwordx2 v[4:5], v[4:5], off
	v_add_co_ci_u32_e64 v3, s0, s4, v3, s0
	v_add_co_u32 v0, s0, s1, v0
	v_add_co_ci_u32_e64 v1, s0, s4, v1, s0
	global_load_dwordx2 v[2:3], v[2:3], off
	s_waitcnt lgkmcnt(0)
	v_lshl_add_u32 v12, v36, 3, v39
	global_load_dwordx2 v[0:1], v[0:1], off
	ds_write2_b32 v40, v15, v16 offset1:1
	ds_write_b64 v14, v[10:11] offset:6240
	ds_read_b64 v[8:9], v12
	ds_read_b64 v[10:11], v14 offset:5616
	s_waitcnt lgkmcnt(0)
	v_sub_f32_e32 v13, v8, v10
	v_add_f32_e32 v15, v9, v11
	v_sub_f32_e32 v9, v9, v11
	v_add_f32_e32 v8, v8, v10
	v_mul_f32_e32 v11, 0.5, v13
	v_mul_f32_e32 v13, 0.5, v15
	v_mul_f32_e32 v9, 0.5, v9
	s_waitcnt vmcnt(3)
	v_mul_f32_e32 v10, v7, v11
	v_fma_f32 v15, v13, v7, v9
	v_fma_f32 v7, v13, v7, -v9
	v_fma_f32 v9, 0.5, v8, v10
	v_fma_f32 v8, v8, 0.5, -v10
	v_fma_f32 v10, -v6, v11, v15
	v_fma_f32 v7, -v6, v11, v7
	v_lshl_add_u32 v11, v34, 3, v39
	v_fmac_f32_e32 v9, v6, v13
	v_fma_f32 v6, -v6, v13, v8
	ds_write2_b32 v12, v9, v10 offset1:1
	ds_write_b64 v14, v[6:7] offset:5616
	ds_read_b64 v[6:7], v11
	ds_read_b64 v[8:9], v14 offset:4992
	s_waitcnt lgkmcnt(0)
	v_sub_f32_e32 v10, v6, v8
	v_add_f32_e32 v12, v7, v9
	v_sub_f32_e32 v7, v7, v9
	v_add_f32_e32 v6, v6, v8
	v_mul_f32_e32 v9, 0.5, v10
	v_mul_f32_e32 v10, 0.5, v12
	v_mul_f32_e32 v7, 0.5, v7
	s_waitcnt vmcnt(2)
	v_mul_f32_e32 v8, v5, v9
	v_fma_f32 v12, v10, v5, v7
	v_fma_f32 v5, v10, v5, -v7
	v_fma_f32 v7, 0.5, v6, v8
	v_fma_f32 v6, v6, 0.5, -v8
	v_fma_f32 v8, -v4, v9, v12
	v_fma_f32 v5, -v4, v9, v5
	v_lshl_add_u32 v9, v32, 3, v39
	v_fmac_f32_e32 v7, v4, v10
	v_fma_f32 v4, -v4, v10, v6
	;; [unrolled: 23-line block ×3, first 2 shown]
	ds_write2_b32 v9, v5, v6 offset1:1
	ds_write_b64 v14, v[2:3] offset:4368
	ds_read_b64 v[2:3], v7
	ds_read_b64 v[4:5], v14 offset:3744
	s_waitcnt lgkmcnt(0)
	v_sub_f32_e32 v6, v2, v4
	v_add_f32_e32 v8, v3, v5
	v_sub_f32_e32 v3, v3, v5
	v_add_f32_e32 v2, v2, v4
	v_mul_f32_e32 v5, 0.5, v6
	v_mul_f32_e32 v6, 0.5, v8
	;; [unrolled: 1-line block ×3, first 2 shown]
	s_waitcnt vmcnt(0)
	v_mul_f32_e32 v4, v1, v5
	v_fma_f32 v8, v6, v1, v3
	v_fma_f32 v1, v6, v1, -v3
	v_fma_f32 v3, 0.5, v2, v4
	v_fma_f32 v2, v2, 0.5, -v4
	v_fma_f32 v4, -v0, v5, v8
	v_fma_f32 v1, -v0, v5, v1
	v_fmac_f32_e32 v3, v0, v6
	v_fma_f32 v0, -v0, v6, v2
	ds_write2_b32 v7, v3, v4 offset1:1
	ds_write_b64 v14, v[0:1] offset:3744
	s_waitcnt lgkmcnt(0)
	s_barrier
	buffer_gl0_inv
	s_and_saveexec_b32 s0, vcc_lo
	s_cbranch_execz .LBB0_27
; %bb.25:
	v_mul_lo_u32 v3, s3, v26
	v_mul_lo_u32 v4, s2, v27
	v_mad_u64_u32 v[1:2], null, s2, v26, 0
	v_lshl_add_u32 v0, v28, 3, v39
	v_mov_b32_e32 v29, 0
	v_lshlrev_b64 v[11:12], 3, v[24:25]
	v_add_nc_u32_e32 v13, 0x4e, v28
	v_add_nc_u32_e32 v15, 0x9c, v28
	ds_read2_b64 v[7:10], v0 offset0:156 offset1:234
	v_add3_u32 v2, v2, v4, v3
	ds_read2_b64 v[3:6], v0 offset1:78
	v_mov_b32_e32 v14, v29
	v_lshlrev_b64 v[17:18], 3, v[28:29]
	v_mov_b32_e32 v16, v29
	v_lshlrev_b64 v[1:2], 3, v[1:2]
	v_lshlrev_b64 v[13:14], 3, v[13:14]
	v_add_co_u32 v1, vcc_lo, s10, v1
	v_add_co_ci_u32_e32 v2, vcc_lo, s11, v2, vcc_lo
	v_add_co_u32 v1, vcc_lo, v1, v11
	v_add_co_ci_u32_e32 v2, vcc_lo, v2, v12, vcc_lo
	v_lshlrev_b64 v[11:12], 3, v[15:16]
	v_add_co_u32 v15, vcc_lo, v1, v17
	v_add_co_ci_u32_e32 v16, vcc_lo, v2, v18, vcc_lo
	v_add_co_u32 v13, vcc_lo, v1, v13
	v_add_co_ci_u32_e32 v14, vcc_lo, v2, v14, vcc_lo
	s_waitcnt lgkmcnt(0)
	global_store_dwordx2 v[15:16], v[3:4], off
	v_add_co_u32 v3, vcc_lo, v1, v11
	v_add_co_ci_u32_e32 v4, vcc_lo, v2, v12, vcc_lo
	v_add_nc_u32_e32 v17, 0x800, v0
	v_add_nc_u32_e32 v11, 0xea, v28
	v_mov_b32_e32 v12, v29
	global_store_dwordx2 v[13:14], v[5:6], off
	global_store_dwordx2 v[3:4], v[7:8], off
	v_add_nc_u32_e32 v15, 0x138, v28
	v_mov_b32_e32 v16, v29
	ds_read2_b64 v[3:6], v17 offset0:56 offset1:134
	v_lshlrev_b64 v[7:8], 3, v[11:12]
	v_add_nc_u32_e32 v13, 0x186, v28
	v_mov_b32_e32 v14, v29
	v_lshlrev_b64 v[11:12], 3, v[15:16]
	v_add_nc_u32_e32 v15, 0x1d4, v28
	v_add_nc_u32_e32 v17, 0xc00, v0
	v_add_co_u32 v7, vcc_lo, v1, v7
	v_lshlrev_b64 v[13:14], 3, v[13:14]
	v_add_co_ci_u32_e32 v8, vcc_lo, v2, v8, vcc_lo
	v_add_co_u32 v11, vcc_lo, v1, v11
	v_add_co_ci_u32_e32 v12, vcc_lo, v2, v12, vcc_lo
	v_add_co_u32 v13, vcc_lo, v1, v13
	v_add_co_ci_u32_e32 v14, vcc_lo, v2, v14, vcc_lo
	global_store_dwordx2 v[7:8], v[9:10], off
	s_waitcnt lgkmcnt(0)
	global_store_dwordx2 v[11:12], v[3:4], off
	global_store_dwordx2 v[13:14], v[5:6], off
	v_lshlrev_b64 v[7:8], 3, v[15:16]
	v_add_nc_u32_e32 v9, 0x222, v28
	v_mov_b32_e32 v10, v29
	ds_read2_b64 v[3:6], v17 offset0:84 offset1:162
	v_add_nc_u32_e32 v17, 0x1000, v0
	v_add_nc_u32_e32 v11, 0x270, v28
	v_mov_b32_e32 v12, v29
	v_add_co_u32 v13, vcc_lo, v1, v7
	v_lshlrev_b64 v[15:16], 3, v[9:10]
	v_add_co_ci_u32_e32 v14, vcc_lo, v2, v8, vcc_lo
	ds_read2_b64 v[7:10], v17 offset0:112 offset1:190
	v_add_nc_u32_e32 v17, 0x2be, v28
	v_mov_b32_e32 v18, v29
	v_lshlrev_b64 v[11:12], 3, v[11:12]
	v_add_co_u32 v15, vcc_lo, v1, v15
	v_add_co_ci_u32_e32 v16, vcc_lo, v2, v16, vcc_lo
	v_lshlrev_b64 v[17:18], 3, v[17:18]
	v_add_co_u32 v11, vcc_lo, v1, v11
	v_add_co_ci_u32_e32 v12, vcc_lo, v2, v12, vcc_lo
	v_add_co_u32 v17, vcc_lo, v1, v17
	v_add_co_ci_u32_e32 v18, vcc_lo, v2, v18, vcc_lo
	v_cmp_eq_u32_e32 vcc_lo, 0x4d, v28
	s_waitcnt lgkmcnt(1)
	global_store_dwordx2 v[13:14], v[3:4], off
	global_store_dwordx2 v[15:16], v[5:6], off
	s_waitcnt lgkmcnt(0)
	global_store_dwordx2 v[11:12], v[7:8], off
	global_store_dwordx2 v[17:18], v[9:10], off
	s_and_b32 exec_lo, exec_lo, vcc_lo
	s_cbranch_execz .LBB0_27
; %bb.26:
	ds_read_b64 v[3:4], v0 offset:5624
	v_add_co_u32 v0, vcc_lo, 0x1800, v1
	v_add_co_ci_u32_e32 v1, vcc_lo, 0, v2, vcc_lo
	s_waitcnt lgkmcnt(0)
	global_store_dwordx2 v[0:1], v[3:4], off offset:96
.LBB0_27:
	s_endpgm
	.section	.rodata,"a",@progbits
	.p2align	6, 0x0
	.amdhsa_kernel fft_rtc_back_len780_factors_2_3_13_5_2_wgs_234_tpt_78_halfLds_sp_op_CI_CI_unitstride_sbrr_R2C_dirReg
		.amdhsa_group_segment_fixed_size 0
		.amdhsa_private_segment_fixed_size 0
		.amdhsa_kernarg_size 104
		.amdhsa_user_sgpr_count 6
		.amdhsa_user_sgpr_private_segment_buffer 1
		.amdhsa_user_sgpr_dispatch_ptr 0
		.amdhsa_user_sgpr_queue_ptr 0
		.amdhsa_user_sgpr_kernarg_segment_ptr 1
		.amdhsa_user_sgpr_dispatch_id 0
		.amdhsa_user_sgpr_flat_scratch_init 0
		.amdhsa_user_sgpr_private_segment_size 0
		.amdhsa_wavefront_size32 1
		.amdhsa_uses_dynamic_stack 0
		.amdhsa_system_sgpr_private_segment_wavefront_offset 0
		.amdhsa_system_sgpr_workgroup_id_x 1
		.amdhsa_system_sgpr_workgroup_id_y 0
		.amdhsa_system_sgpr_workgroup_id_z 0
		.amdhsa_system_sgpr_workgroup_info 0
		.amdhsa_system_vgpr_workitem_id 0
		.amdhsa_next_free_vgpr 154
		.amdhsa_next_free_sgpr 27
		.amdhsa_reserve_vcc 1
		.amdhsa_reserve_flat_scratch 0
		.amdhsa_float_round_mode_32 0
		.amdhsa_float_round_mode_16_64 0
		.amdhsa_float_denorm_mode_32 3
		.amdhsa_float_denorm_mode_16_64 3
		.amdhsa_dx10_clamp 1
		.amdhsa_ieee_mode 1
		.amdhsa_fp16_overflow 0
		.amdhsa_workgroup_processor_mode 1
		.amdhsa_memory_ordered 1
		.amdhsa_forward_progress 0
		.amdhsa_shared_vgpr_count 0
		.amdhsa_exception_fp_ieee_invalid_op 0
		.amdhsa_exception_fp_denorm_src 0
		.amdhsa_exception_fp_ieee_div_zero 0
		.amdhsa_exception_fp_ieee_overflow 0
		.amdhsa_exception_fp_ieee_underflow 0
		.amdhsa_exception_fp_ieee_inexact 0
		.amdhsa_exception_int_div_zero 0
	.end_amdhsa_kernel
	.text
.Lfunc_end0:
	.size	fft_rtc_back_len780_factors_2_3_13_5_2_wgs_234_tpt_78_halfLds_sp_op_CI_CI_unitstride_sbrr_R2C_dirReg, .Lfunc_end0-fft_rtc_back_len780_factors_2_3_13_5_2_wgs_234_tpt_78_halfLds_sp_op_CI_CI_unitstride_sbrr_R2C_dirReg
                                        ; -- End function
	.section	.AMDGPU.csdata,"",@progbits
; Kernel info:
; codeLenInByte = 9380
; NumSgprs: 29
; NumVgprs: 154
; ScratchSize: 0
; MemoryBound: 0
; FloatMode: 240
; IeeeMode: 1
; LDSByteSize: 0 bytes/workgroup (compile time only)
; SGPRBlocks: 3
; VGPRBlocks: 19
; NumSGPRsForWavesPerEU: 29
; NumVGPRsForWavesPerEU: 154
; Occupancy: 6
; WaveLimiterHint : 1
; COMPUTE_PGM_RSRC2:SCRATCH_EN: 0
; COMPUTE_PGM_RSRC2:USER_SGPR: 6
; COMPUTE_PGM_RSRC2:TRAP_HANDLER: 0
; COMPUTE_PGM_RSRC2:TGID_X_EN: 1
; COMPUTE_PGM_RSRC2:TGID_Y_EN: 0
; COMPUTE_PGM_RSRC2:TGID_Z_EN: 0
; COMPUTE_PGM_RSRC2:TIDIG_COMP_CNT: 0
	.text
	.p2alignl 6, 3214868480
	.fill 48, 4, 3214868480
	.type	__hip_cuid_43591b1e436ffee6,@object ; @__hip_cuid_43591b1e436ffee6
	.section	.bss,"aw",@nobits
	.globl	__hip_cuid_43591b1e436ffee6
__hip_cuid_43591b1e436ffee6:
	.byte	0                               ; 0x0
	.size	__hip_cuid_43591b1e436ffee6, 1

	.ident	"AMD clang version 19.0.0git (https://github.com/RadeonOpenCompute/llvm-project roc-6.4.0 25133 c7fe45cf4b819c5991fe208aaa96edf142730f1d)"
	.section	".note.GNU-stack","",@progbits
	.addrsig
	.addrsig_sym __hip_cuid_43591b1e436ffee6
	.amdgpu_metadata
---
amdhsa.kernels:
  - .args:
      - .actual_access:  read_only
        .address_space:  global
        .offset:         0
        .size:           8
        .value_kind:     global_buffer
      - .offset:         8
        .size:           8
        .value_kind:     by_value
      - .actual_access:  read_only
        .address_space:  global
        .offset:         16
        .size:           8
        .value_kind:     global_buffer
      - .actual_access:  read_only
        .address_space:  global
        .offset:         24
        .size:           8
        .value_kind:     global_buffer
      - .actual_access:  read_only
        .address_space:  global
        .offset:         32
        .size:           8
        .value_kind:     global_buffer
      - .offset:         40
        .size:           8
        .value_kind:     by_value
      - .actual_access:  read_only
        .address_space:  global
        .offset:         48
        .size:           8
        .value_kind:     global_buffer
      - .actual_access:  read_only
        .address_space:  global
        .offset:         56
        .size:           8
        .value_kind:     global_buffer
      - .offset:         64
        .size:           4
        .value_kind:     by_value
      - .actual_access:  read_only
        .address_space:  global
        .offset:         72
        .size:           8
        .value_kind:     global_buffer
      - .actual_access:  read_only
        .address_space:  global
        .offset:         80
        .size:           8
        .value_kind:     global_buffer
      - .actual_access:  read_only
        .address_space:  global
        .offset:         88
        .size:           8
        .value_kind:     global_buffer
      - .actual_access:  write_only
        .address_space:  global
        .offset:         96
        .size:           8
        .value_kind:     global_buffer
    .group_segment_fixed_size: 0
    .kernarg_segment_align: 8
    .kernarg_segment_size: 104
    .language:       OpenCL C
    .language_version:
      - 2
      - 0
    .max_flat_workgroup_size: 234
    .name:           fft_rtc_back_len780_factors_2_3_13_5_2_wgs_234_tpt_78_halfLds_sp_op_CI_CI_unitstride_sbrr_R2C_dirReg
    .private_segment_fixed_size: 0
    .sgpr_count:     29
    .sgpr_spill_count: 0
    .symbol:         fft_rtc_back_len780_factors_2_3_13_5_2_wgs_234_tpt_78_halfLds_sp_op_CI_CI_unitstride_sbrr_R2C_dirReg.kd
    .uniform_work_group_size: 1
    .uses_dynamic_stack: false
    .vgpr_count:     154
    .vgpr_spill_count: 0
    .wavefront_size: 32
    .workgroup_processor_mode: 1
amdhsa.target:   amdgcn-amd-amdhsa--gfx1030
amdhsa.version:
  - 1
  - 2
...

	.end_amdgpu_metadata
